;; amdgpu-corpus repo=ROCm/bitsandbytes kind=harvested arch=n/a opt=n/a
	.text
	.amdgcn_target "amdgcn-amd-amdhsa--gfx942"
	.amdhsa_code_object_version 6
	.protected	_Z18kQuantizeBlockwiseI12hip_bfloat16Li256ELi2ELi0ELi1EEvPfPT_S1_PhS1_ii ; -- Begin function _Z18kQuantizeBlockwiseI12hip_bfloat16Li256ELi2ELi0ELi1EEvPfPT_S1_PhS1_ii
	.globl	_Z18kQuantizeBlockwiseI12hip_bfloat16Li256ELi2ELi0ELi1EEvPfPT_S1_PhS1_ii
	.p2align	8
	.type	_Z18kQuantizeBlockwiseI12hip_bfloat16Li256ELi2ELi0ELi1EEvPfPT_S1_PhS1_ii,@function
_Z18kQuantizeBlockwiseI12hip_bfloat16Li256ELi2ELi0ELi1EEvPfPT_S1_PhS1_ii: ; @_Z18kQuantizeBlockwiseI12hip_bfloat16Li256ELi2ELi0ELi1EEvPfPT_S1_PhS1_ii
; %bb.0:
	s_load_dword s3, s[0:1], 0x30
	s_lshl_b32 s20, s2, 8
	s_waitcnt lgkmcnt(0)
	s_lshl_b32 s22, s3, 8
	s_cmp_ge_i32 s20, s22
	s_cbranch_scc1 .LBB145_67
; %bb.1:
	v_mbcnt_lo_u32_b32 v1, -1, 0
	s_load_dwordx2 s[2:3], s[0:1], 0x8
	s_load_dwordx4 s[16:19], s[0:1], 0x10
	s_load_dword s6, s[0:1], 0x2c
	v_mbcnt_hi_u32_b32 v2, -1, v1
	v_lshlrev_b32_e32 v1, 1, v0
	v_and_b32_e32 v1, 0x780, v1
	v_mov_b32_e32 v3, 0
	v_lshlrev_b32_e32 v4, 1, v2
	v_mov_b32_e32 v5, v3
	v_or_b32_e32 v10, v2, v1
	s_waitcnt lgkmcnt(0)
	v_lshl_add_u64 v[4:5], s[2:3], 0, v[4:5]
	v_lshlrev_b32_e32 v6, 1, v1
	v_mov_b32_e32 v7, v3
	v_lshrrev_b32_e32 v1, 5, v10
	v_lshl_add_u64 v[4:5], v[4:5], 0, v[6:7]
	v_add_u32_e32 v11, 64, v10
	v_and_b32_e32 v1, 62, v1
	v_and_b32_e32 v6, 0x3c0, v0
	v_add_lshl_u32 v12, v1, v10, 1
	v_lshrrev_b32_e32 v1, 5, v11
	v_add_u32_e32 v14, v2, v6
	v_and_b32_e32 v1, 0x7e, v1
	v_lshrrev_b32_e32 v7, 4, v14
	v_add_lshl_u32 v13, v1, v11, 1
	v_lshlrev_b32_e32 v1, 1, v14
	v_and_b32_e32 v7, 0x7e, v7
	v_add_lshl_u32 v15, v7, v1, 1
	v_and_b32_e32 v1, 63, v2
	v_cmp_ne_u32_e32 vcc, 63, v1
	v_cmp_gt_u32_e64 s[2:3], 2, v0
	v_cmp_eq_u32_e64 s[4:5], 0, v0
	v_addc_co_u32_e32 v7, vcc, 0, v2, vcc
	v_cmp_gt_u32_e32 vcc, 62, v1
	v_lshlrev_b32_e32 v16, 2, v7
	v_add_u32_e32 v17, 1, v2
	v_cndmask_b32_e64 v7, 0, 1, vcc
	v_lshlrev_b32_e32 v7, 1, v7
	v_cmp_gt_u32_e32 vcc, 60, v1
	v_add_lshl_u32 v18, v7, v2, 2
	v_add_u32_e32 v19, 2, v2
	v_cndmask_b32_e64 v7, 0, 1, vcc
	v_lshlrev_b32_e32 v7, 2, v7
	v_cmp_gt_u32_e32 vcc, 56, v1
	v_add_lshl_u32 v20, v7, v2, 2
	;; [unrolled: 5-line block ×3, first 2 shown]
	v_add_u32_e32 v23, 8, v2
	v_cndmask_b32_e64 v7, 0, 1, vcc
	v_cmp_gt_u32_e32 vcc, 32, v1
	v_lshlrev_b32_e32 v7, 4, v7
	v_add_lshl_u32 v24, v7, v2, 2
	v_cndmask_b32_e64 v1, 0, 1, vcc
	v_lshlrev_b32_e32 v1, 5, v1
	v_add_lshl_u32 v26, v1, v2, 2
	v_lshrrev_b32_e32 v1, 4, v0
	v_and_b32_e32 v1, 60, v1
	v_add_u32_e32 v28, 0x290, v1
	v_lshlrev_b32_e32 v1, 2, v2
	v_and_b32_e32 v7, 1, v2
	v_add_u32_e32 v29, 0x290, v1
	v_add_u32_e32 v30, 1, v7
	v_or_b32_e32 v31, 4, v1
	v_lshl_add_u64 v[0:1], s[18:19], 0, v[2:3]
	v_mov_b32_e32 v7, v3
	v_add_u32_e32 v25, 16, v2
	v_add_u32_e32 v27, 32, v2
	v_cmp_eq_u32_e64 s[0:1], 0, v2
	v_lshl_add_u64 v[0:1], v[0:1], 0, v[6:7]
	s_sub_i32 s18, s6, s20
	s_mov_b32 s19, 0xff7fffff
	s_mov_b32 s23, 0x3e955555
	;; [unrolled: 1-line block ×8, first 2 shown]
	s_branch .LBB145_3
.LBB145_2:                              ;   in Loop: Header=BB145_3 Depth=1
	s_or_b64 exec, exec, s[6:7]
	s_add_i32 s20, s20, s22
	s_sub_i32 s18, s18, s22
	s_cmp_ge_i32 s20, s22
	s_cbranch_scc1 .LBB145_67
.LBB145_3:                              ; =>This Inner Loop Header: Depth=1
	s_min_i32 s30, s18, 0x100
	s_ashr_i32 s21, s20, 31
	v_lshl_add_u64 v[8:9], s[20:21], 1, v[4:5]
	v_cmp_gt_u32_e32 vcc, s30, v10
	v_mov_b32_e32 v2, 0
	s_barrier
	s_and_saveexec_b64 s[6:7], vcc
	s_cbranch_execz .LBB145_5
; %bb.4:                                ;   in Loop: Header=BB145_3 Depth=1
	global_load_ushort v2, v[8:9], off
.LBB145_5:                              ;   in Loop: Header=BB145_3 Depth=1
	s_or_b64 exec, exec, s[6:7]
	v_cmp_gt_u32_e32 vcc, s30, v11
	v_mov_b32_e32 v7, 0
	s_and_saveexec_b64 s[6:7], vcc
	s_cbranch_execz .LBB145_7
; %bb.6:                                ;   in Loop: Header=BB145_3 Depth=1
	global_load_ushort v7, v[8:9], off offset:128
.LBB145_7:                              ;   in Loop: Header=BB145_3 Depth=1
	s_or_b64 exec, exec, s[6:7]
	s_waitcnt vmcnt(0)
	ds_write_b16 v12, v2
	ds_write_b16 v13, v7
	; wave barrier
	ds_read_u16 v2, v15
	ds_read_u16 v7, v15 offset:2
	v_sub_u32_e64 v32, s30, v6 clamp
	v_cmp_lt_u32_e64 s[12:13], v27, v32
	s_waitcnt lgkmcnt(1)
	v_lshlrev_b32_e32 v2, 16, v2
	s_waitcnt lgkmcnt(0)
	v_lshlrev_b32_e32 v7, 16, v7
	v_max3_f32 v8, |v2|, s19, |v7|
	ds_bpermute_b32 v9, v16, v8
	s_waitcnt lgkmcnt(0)
	v_cmp_lt_f32_e32 vcc, v8, v9
	s_nop 1
	v_cndmask_b32_e32 v9, v8, v9, vcc
	v_cmp_lt_u32_e32 vcc, v17, v32
	s_nop 1
	v_cndmask_b32_e32 v9, v8, v9, vcc
	ds_bpermute_b32 v33, v18, v9
	s_waitcnt lgkmcnt(0)
	v_cmp_lt_f32_e64 s[6:7], v9, v33
	s_nop 1
	v_cndmask_b32_e64 v33, v9, v33, s[6:7]
	v_cmp_lt_u32_e64 s[6:7], v19, v32
	s_nop 1
	v_cndmask_b32_e64 v9, v9, v33, s[6:7]
	ds_bpermute_b32 v33, v20, v9
	s_or_b64 s[6:7], vcc, s[6:7]
	s_waitcnt lgkmcnt(0)
	v_cmp_lt_f32_e64 s[8:9], v9, v33
	s_nop 1
	v_cndmask_b32_e64 v33, v9, v33, s[8:9]
	v_cmp_lt_u32_e64 s[8:9], v21, v32
	s_or_b64 s[6:7], s[8:9], s[6:7]
	s_nop 0
	v_cndmask_b32_e64 v9, v9, v33, s[8:9]
	ds_bpermute_b32 v33, v22, v9
	s_waitcnt lgkmcnt(0)
	v_cmp_lt_f32_e64 s[10:11], v9, v33
	s_nop 1
	v_cndmask_b32_e64 v33, v9, v33, s[10:11]
	v_cmp_lt_u32_e64 s[10:11], v23, v32
	s_or_b64 s[6:7], s[10:11], s[6:7]
	s_nop 0
	v_cndmask_b32_e64 v9, v9, v33, s[10:11]
	ds_bpermute_b32 v33, v24, v9
	;; [unrolled: 9-line block ×3, first 2 shown]
	s_waitcnt lgkmcnt(0)
	v_cmp_lt_f32_e32 vcc, v9, v32
	s_and_b64 vcc, s[12:13], vcc
	s_nop 0
	v_cndmask_b32_e32 v9, v9, v32, vcc
	s_or_b64 vcc, s[12:13], s[6:7]
	v_cndmask_b32_e32 v8, v8, v9, vcc
	s_and_saveexec_b64 s[6:7], s[0:1]
	s_cbranch_execz .LBB145_9
; %bb.8:                                ;   in Loop: Header=BB145_3 Depth=1
	ds_write_b32 v28, v8
.LBB145_9:                              ;   in Loop: Header=BB145_3 Depth=1
	s_or_b64 exec, exec, s[6:7]
	s_waitcnt lgkmcnt(0)
	s_barrier
	s_and_saveexec_b64 s[8:9], s[2:3]
	s_cbranch_execz .LBB145_11
; %bb.10:                               ;   in Loop: Header=BB145_3 Depth=1
	ds_read_b32 v8, v29
	s_add_i32 s6, s30, 63
	s_lshr_b32 s6, s6, 6
	v_cmp_gt_u32_e32 vcc, s6, v30
	s_waitcnt lgkmcnt(0)
	ds_bpermute_b32 v9, v31, v8
	s_waitcnt lgkmcnt(0)
	v_cmp_lt_f32_e64 s[6:7], v8, v9
	s_and_b64 vcc, vcc, s[6:7]
	v_cndmask_b32_e32 v8, v8, v9, vcc
.LBB145_11:                             ;   in Loop: Header=BB145_3 Depth=1
	s_or_b64 exec, exec, s[8:9]
	s_and_saveexec_b64 s[6:7], s[4:5]
	s_cbranch_execz .LBB145_13
; %bb.12:                               ;   in Loop: Header=BB145_3 Depth=1
	v_div_scale_f32 v9, s[8:9], v8, v8, 1.0
	v_rcp_f32_e32 v32, v9
	v_div_scale_f32 v33, vcc, 1.0, v8, 1.0
	s_ashr_i32 s8, s20, 8
	v_fma_f32 v34, -v9, v32, 1.0
	v_fmac_f32_e32 v32, v34, v32
	v_mul_f32_e32 v34, v33, v32
	v_fma_f32 v35, -v9, v34, v33
	v_fmac_f32_e32 v34, v35, v32
	s_ashr_i32 s9, s8, 31
	v_fma_f32 v9, -v9, v34, v33
	s_lshl_b64 s[8:9], s[8:9], 2
	v_div_fmas_f32 v9, v9, v32, v34
	s_add_u32 s8, s16, s8
	v_div_fixup_f32 v9, v9, v8, 1.0
	s_addc_u32 s9, s17, s9
	ds_write_b32 v3, v9 offset:664
	global_store_dword v3, v8, s[8:9]
.LBB145_13:                             ;   in Loop: Header=BB145_3 Depth=1
	s_or_b64 exec, exec, s[6:7]
	s_waitcnt lgkmcnt(0)
	s_barrier
	ds_read_b32 v8, v3 offset:664
	s_waitcnt lgkmcnt(0)
	v_mul_f32_e32 v9, v8, v2
	v_cmp_gt_f32_e32 vcc, 0, v9
	v_cmp_ngt_f32_e64 s[6:7], |v9|, s23
	s_nop 0
	v_cndmask_b32_e64 v2, 0, 1, vcc
	v_lshlrev_b16_e32 v2, 3, v2
	s_and_saveexec_b64 s[8:9], s[6:7]
	s_xor_b64 s[6:7], exec, s[8:9]
	s_cbranch_execz .LBB145_25
; %bb.14:                               ;   in Loop: Header=BB145_3 Depth=1
	v_cmp_ngt_f32_e64 s[8:9], |v9|, s24
	s_and_saveexec_b64 s[10:11], s[8:9]
	s_xor_b64 s[8:9], exec, s[10:11]
	s_cbranch_execz .LBB145_18
; %bb.15:                               ;   in Loop: Header=BB145_3 Depth=1
	v_cmp_gt_f32_e64 s[12:13], |v9|, s25
	s_and_saveexec_b64 s[10:11], s[12:13]
; %bb.16:                               ;   in Loop: Header=BB145_3 Depth=1
	v_or_b32_e32 v2, 1, v2
; %bb.17:                               ;   in Loop: Header=BB145_3 Depth=1
	s_or_b64 exec, exec, s[10:11]
                                        ; implicit-def: $vgpr9
.LBB145_18:                             ;   in Loop: Header=BB145_3 Depth=1
	s_andn2_saveexec_b64 s[8:9], s[8:9]
	s_cbranch_execz .LBB145_24
; %bb.19:                               ;   in Loop: Header=BB145_3 Depth=1
	v_cmp_ngt_f32_e64 s[10:11], |v9|, s26
	s_and_saveexec_b64 s[12:13], s[10:11]
	s_xor_b64 s[10:11], exec, s[12:13]
; %bb.20:                               ;   in Loop: Header=BB145_3 Depth=1
	v_or_b32_e32 v2, 6, v2
; %bb.21:                               ;   in Loop: Header=BB145_3 Depth=1
	s_andn2_saveexec_b64 s[10:11], s[10:11]
; %bb.22:                               ;   in Loop: Header=BB145_3 Depth=1
	v_or_b32_e32 v2, 7, v2
; %bb.23:                               ;   in Loop: Header=BB145_3 Depth=1
	s_or_b64 exec, exec, s[10:11]
.LBB145_24:                             ;   in Loop: Header=BB145_3 Depth=1
	s_or_b64 exec, exec, s[8:9]
                                        ; implicit-def: $vgpr9
.LBB145_25:                             ;   in Loop: Header=BB145_3 Depth=1
	s_andn2_saveexec_b64 s[6:7], s[6:7]
	s_cbranch_execz .LBB145_39
; %bb.26:                               ;   in Loop: Header=BB145_3 Depth=1
	v_cmp_ngt_f32_e64 s[8:9], |v9|, s27
	s_and_saveexec_b64 s[10:11], s[8:9]
	s_xor_b64 s[8:9], exec, s[10:11]
	s_cbranch_execz .LBB145_32
; %bb.27:                               ;   in Loop: Header=BB145_3 Depth=1
	v_cmp_ngt_f32_e64 s[10:11], |v9|, s28
	s_and_saveexec_b64 s[12:13], s[10:11]
	s_xor_b64 s[10:11], exec, s[12:13]
; %bb.28:                               ;   in Loop: Header=BB145_3 Depth=1
	v_or_b32_e32 v2, 4, v2
; %bb.29:                               ;   in Loop: Header=BB145_3 Depth=1
	s_andn2_saveexec_b64 s[10:11], s[10:11]
; %bb.30:                               ;   in Loop: Header=BB145_3 Depth=1
	v_or_b32_e32 v2, 5, v2
; %bb.31:                               ;   in Loop: Header=BB145_3 Depth=1
	s_or_b64 exec, exec, s[10:11]
                                        ; implicit-def: $vgpr9
.LBB145_32:                             ;   in Loop: Header=BB145_3 Depth=1
	s_andn2_saveexec_b64 s[8:9], s[8:9]
	s_cbranch_execz .LBB145_38
; %bb.33:                               ;   in Loop: Header=BB145_3 Depth=1
	v_cmp_ngt_f32_e64 s[10:11], |v9|, s29
	s_and_saveexec_b64 s[12:13], s[10:11]
	s_xor_b64 s[10:11], exec, s[12:13]
; %bb.34:                               ;   in Loop: Header=BB145_3 Depth=1
	v_or_b32_e32 v2, 2, v2
; %bb.35:                               ;   in Loop: Header=BB145_3 Depth=1
	s_andn2_saveexec_b64 s[10:11], s[10:11]
; %bb.36:                               ;   in Loop: Header=BB145_3 Depth=1
	v_or_b32_e32 v2, 3, v2
; %bb.37:                               ;   in Loop: Header=BB145_3 Depth=1
	s_or_b64 exec, exec, s[10:11]
.LBB145_38:                             ;   in Loop: Header=BB145_3 Depth=1
	s_or_b64 exec, exec, s[8:9]
.LBB145_39:                             ;   in Loop: Header=BB145_3 Depth=1
	s_or_b64 exec, exec, s[6:7]
	v_mul_f32_e32 v8, v8, v7
	v_cmp_gt_f32_e32 vcc, 0, v8
	v_cmp_ngt_f32_e64 s[6:7], |v8|, s23
	s_nop 0
	v_cndmask_b32_e64 v7, 0, 1, vcc
	v_lshlrev_b16_e32 v7, 3, v7
	s_and_saveexec_b64 s[8:9], s[6:7]
	s_xor_b64 s[6:7], exec, s[8:9]
	s_cbranch_execz .LBB145_51
; %bb.40:                               ;   in Loop: Header=BB145_3 Depth=1
	v_cmp_ngt_f32_e64 s[8:9], |v8|, s24
	s_and_saveexec_b64 s[10:11], s[8:9]
	s_xor_b64 s[8:9], exec, s[10:11]
	s_cbranch_execz .LBB145_44
; %bb.41:                               ;   in Loop: Header=BB145_3 Depth=1
	v_cmp_gt_f32_e64 s[12:13], |v8|, s25
	s_and_saveexec_b64 s[10:11], s[12:13]
; %bb.42:                               ;   in Loop: Header=BB145_3 Depth=1
	v_or_b32_e32 v7, 1, v7
; %bb.43:                               ;   in Loop: Header=BB145_3 Depth=1
	s_or_b64 exec, exec, s[10:11]
                                        ; implicit-def: $vgpr8
.LBB145_44:                             ;   in Loop: Header=BB145_3 Depth=1
	s_andn2_saveexec_b64 s[8:9], s[8:9]
	s_cbranch_execz .LBB145_50
; %bb.45:                               ;   in Loop: Header=BB145_3 Depth=1
	v_cmp_ngt_f32_e64 s[10:11], |v8|, s26
	s_and_saveexec_b64 s[12:13], s[10:11]
	s_xor_b64 s[10:11], exec, s[12:13]
; %bb.46:                               ;   in Loop: Header=BB145_3 Depth=1
	v_or_b32_e32 v7, 6, v7
; %bb.47:                               ;   in Loop: Header=BB145_3 Depth=1
	s_andn2_saveexec_b64 s[10:11], s[10:11]
; %bb.48:                               ;   in Loop: Header=BB145_3 Depth=1
	v_or_b32_e32 v7, 7, v7
; %bb.49:                               ;   in Loop: Header=BB145_3 Depth=1
	s_or_b64 exec, exec, s[10:11]
.LBB145_50:                             ;   in Loop: Header=BB145_3 Depth=1
	s_or_b64 exec, exec, s[8:9]
                                        ; implicit-def: $vgpr8
.LBB145_51:                             ;   in Loop: Header=BB145_3 Depth=1
	s_andn2_saveexec_b64 s[6:7], s[6:7]
	s_cbranch_execz .LBB145_65
; %bb.52:                               ;   in Loop: Header=BB145_3 Depth=1
	v_cmp_ngt_f32_e64 s[8:9], |v8|, s27
	s_and_saveexec_b64 s[10:11], s[8:9]
	s_xor_b64 s[8:9], exec, s[10:11]
	s_cbranch_execz .LBB145_58
; %bb.53:                               ;   in Loop: Header=BB145_3 Depth=1
	v_cmp_ngt_f32_e64 s[10:11], |v8|, s28
	s_and_saveexec_b64 s[12:13], s[10:11]
	s_xor_b64 s[10:11], exec, s[12:13]
; %bb.54:                               ;   in Loop: Header=BB145_3 Depth=1
	v_or_b32_e32 v7, 4, v7
; %bb.55:                               ;   in Loop: Header=BB145_3 Depth=1
	s_andn2_saveexec_b64 s[10:11], s[10:11]
; %bb.56:                               ;   in Loop: Header=BB145_3 Depth=1
	v_or_b32_e32 v7, 5, v7
; %bb.57:                               ;   in Loop: Header=BB145_3 Depth=1
	s_or_b64 exec, exec, s[10:11]
                                        ; implicit-def: $vgpr8
.LBB145_58:                             ;   in Loop: Header=BB145_3 Depth=1
	s_andn2_saveexec_b64 s[8:9], s[8:9]
	s_cbranch_execz .LBB145_64
; %bb.59:                               ;   in Loop: Header=BB145_3 Depth=1
	v_cmp_ngt_f32_e64 s[10:11], |v8|, s29
	s_and_saveexec_b64 s[12:13], s[10:11]
	s_xor_b64 s[10:11], exec, s[12:13]
; %bb.60:                               ;   in Loop: Header=BB145_3 Depth=1
	v_or_b32_e32 v7, 2, v7
; %bb.61:                               ;   in Loop: Header=BB145_3 Depth=1
	s_andn2_saveexec_b64 s[10:11], s[10:11]
; %bb.62:                               ;   in Loop: Header=BB145_3 Depth=1
	v_or_b32_e32 v7, 3, v7
; %bb.63:                               ;   in Loop: Header=BB145_3 Depth=1
	s_or_b64 exec, exec, s[10:11]
.LBB145_64:                             ;   in Loop: Header=BB145_3 Depth=1
	s_or_b64 exec, exec, s[8:9]
.LBB145_65:                             ;   in Loop: Header=BB145_3 Depth=1
	s_or_b64 exec, exec, s[6:7]
	s_add_i32 s6, s30, 1
	s_lshr_b32 s7, s6, 31
	s_add_i32 s6, s6, s7
	v_lshlrev_b16_e32 v2, 4, v2
	s_ashr_i32 s6, s6, 1
	v_or_b32_e32 v2, v7, v2
	v_cmp_gt_u32_e32 vcc, s6, v14
	s_barrier
	ds_write_b8 v14, v2 offset:528
	; wave barrier
	s_and_saveexec_b64 s[6:7], vcc
	s_cbranch_execz .LBB145_2
; %bb.66:                               ;   in Loop: Header=BB145_3 Depth=1
	ds_read_u8 v2, v14 offset:528
	s_ashr_i32 s8, s20, 1
	s_ashr_i32 s9, s8, 31
	v_lshl_add_u64 v[8:9], v[0:1], 0, s[8:9]
	s_waitcnt lgkmcnt(0)
	global_store_byte v[8:9], v2, off
	s_branch .LBB145_2
.LBB145_67:
	s_endpgm
	.section	.rodata,"a",@progbits
	.p2align	6, 0x0
	.amdhsa_kernel _Z18kQuantizeBlockwiseI12hip_bfloat16Li256ELi2ELi0ELi1EEvPfPT_S1_PhS1_ii
		.amdhsa_group_segment_fixed_size 668
		.amdhsa_private_segment_fixed_size 0
		.amdhsa_kernarg_size 304
		.amdhsa_user_sgpr_count 2
		.amdhsa_user_sgpr_dispatch_ptr 0
		.amdhsa_user_sgpr_queue_ptr 0
		.amdhsa_user_sgpr_kernarg_segment_ptr 1
		.amdhsa_user_sgpr_dispatch_id 0
		.amdhsa_user_sgpr_kernarg_preload_length 0
		.amdhsa_user_sgpr_kernarg_preload_offset 0
		.amdhsa_user_sgpr_private_segment_size 0
		.amdhsa_uses_dynamic_stack 0
		.amdhsa_enable_private_segment 0
		.amdhsa_system_sgpr_workgroup_id_x 1
		.amdhsa_system_sgpr_workgroup_id_y 0
		.amdhsa_system_sgpr_workgroup_id_z 0
		.amdhsa_system_sgpr_workgroup_info 0
		.amdhsa_system_vgpr_workitem_id 0
		.amdhsa_next_free_vgpr 36
		.amdhsa_next_free_sgpr 31
		.amdhsa_accum_offset 36
		.amdhsa_reserve_vcc 1
		.amdhsa_float_round_mode_32 0
		.amdhsa_float_round_mode_16_64 0
		.amdhsa_float_denorm_mode_32 3
		.amdhsa_float_denorm_mode_16_64 3
		.amdhsa_dx10_clamp 1
		.amdhsa_ieee_mode 1
		.amdhsa_fp16_overflow 0
		.amdhsa_tg_split 0
		.amdhsa_exception_fp_ieee_invalid_op 0
		.amdhsa_exception_fp_denorm_src 0
		.amdhsa_exception_fp_ieee_div_zero 0
		.amdhsa_exception_fp_ieee_overflow 0
		.amdhsa_exception_fp_ieee_underflow 0
		.amdhsa_exception_fp_ieee_inexact 0
		.amdhsa_exception_int_div_zero 0
	.end_amdhsa_kernel
	.section	.text._Z18kQuantizeBlockwiseI12hip_bfloat16Li256ELi2ELi0ELi1EEvPfPT_S1_PhS1_ii,"axG",@progbits,_Z18kQuantizeBlockwiseI12hip_bfloat16Li256ELi2ELi0ELi1EEvPfPT_S1_PhS1_ii,comdat
.Lfunc_end145:
	.size	_Z18kQuantizeBlockwiseI12hip_bfloat16Li256ELi2ELi0ELi1EEvPfPT_S1_PhS1_ii, .Lfunc_end145-_Z18kQuantizeBlockwiseI12hip_bfloat16Li256ELi2ELi0ELi1EEvPfPT_S1_PhS1_ii
                                        ; -- End function
	.section	.AMDGPU.csdata,"",@progbits
; Kernel info:
; codeLenInByte = 1784
; NumSgprs: 37
; NumVgprs: 36
; NumAgprs: 0
; TotalNumVgprs: 36
; ScratchSize: 0
; MemoryBound: 0
; FloatMode: 240
; IeeeMode: 1
; LDSByteSize: 668 bytes/workgroup (compile time only)
; SGPRBlocks: 4
; VGPRBlocks: 4
; NumSGPRsForWavesPerEU: 37
; NumVGPRsForWavesPerEU: 36
; AccumOffset: 36
; Occupancy: 8
; WaveLimiterHint : 0
; COMPUTE_PGM_RSRC2:SCRATCH_EN: 0
; COMPUTE_PGM_RSRC2:USER_SGPR: 2
; COMPUTE_PGM_RSRC2:TRAP_HANDLER: 0
; COMPUTE_PGM_RSRC2:TGID_X_EN: 1
; COMPUTE_PGM_RSRC2:TGID_Y_EN: 0
; COMPUTE_PGM_RSRC2:TGID_Z_EN: 0
; COMPUTE_PGM_RSRC2:TIDIG_COMP_CNT: 0
; COMPUTE_PGM_RSRC3_GFX90A:ACCUM_OFFSET: 8
; COMPUTE_PGM_RSRC3_GFX90A:TG_SPLIT: 0
	.section	.text._Z18kQuantizeBlockwiseI12hip_bfloat16Li128ELi2ELi0ELi1EEvPfPT_S1_PhS1_ii,"axG",@progbits,_Z18kQuantizeBlockwiseI12hip_bfloat16Li128ELi2ELi0ELi1EEvPfPT_S1_PhS1_ii,comdat
